;; amdgpu-corpus repo=ROCm/rocFFT kind=compiled arch=gfx1201 opt=O3
	.text
	.amdgcn_target "amdgcn-amd-amdhsa--gfx1201"
	.amdhsa_code_object_version 6
	.protected	fft_rtc_back_len343_factors_7_7_7_wgs_245_tpt_49_half_ip_CI_sbcc_dirReg_intrinsicReadWrite ; -- Begin function fft_rtc_back_len343_factors_7_7_7_wgs_245_tpt_49_half_ip_CI_sbcc_dirReg_intrinsicReadWrite
	.globl	fft_rtc_back_len343_factors_7_7_7_wgs_245_tpt_49_half_ip_CI_sbcc_dirReg_intrinsicReadWrite
	.p2align	8
	.type	fft_rtc_back_len343_factors_7_7_7_wgs_245_tpt_49_half_ip_CI_sbcc_dirReg_intrinsicReadWrite,@function
fft_rtc_back_len343_factors_7_7_7_wgs_245_tpt_49_half_ip_CI_sbcc_dirReg_intrinsicReadWrite: ; @fft_rtc_back_len343_factors_7_7_7_wgs_245_tpt_49_half_ip_CI_sbcc_dirReg_intrinsicReadWrite
; %bb.0:
	s_load_b128 s[8:11], s[0:1], 0x18
	s_mov_b32 s15, 0
	s_mov_b32 s2, 0x3330c000
	s_movk_i32 s3, 0xb3
	s_mov_b32 s14, s15
	s_mov_b64 s[24:25], 0
	s_add_nc_u64 s[2:3], s[14:15], s[2:3]
	s_delay_alu instid0(SALU_CYCLE_1) | instskip(NEXT) | instid1(SALU_CYCLE_1)
	s_add_co_i32 s3, s3, 0x33333280
	s_mul_u64 s[4:5], s[2:3], -5
	s_delay_alu instid0(SALU_CYCLE_1)
	s_mul_hi_u32 s7, s2, s5
	s_mul_i32 s6, s2, s5
	s_mul_hi_u32 s14, s2, s4
	s_mul_i32 s17, s3, s4
	s_add_nc_u64 s[6:7], s[14:15], s[6:7]
	s_mul_hi_u32 s16, s3, s4
	s_mul_hi_u32 s18, s3, s5
	s_mul_i32 s4, s3, s5
	s_wait_kmcnt 0x0
	s_load_b64 s[12:13], s[8:9], 0x8
	s_add_co_u32 s5, s6, s17
	s_add_co_ci_u32 s14, s7, s16
	s_add_co_ci_u32 s5, s18, 0
	s_delay_alu instid0(SALU_CYCLE_1) | instskip(NEXT) | instid1(SALU_CYCLE_1)
	s_add_nc_u64 s[4:5], s[14:15], s[4:5]
	v_add_co_u32 v1, s2, s2, s4
	s_delay_alu instid0(VALU_DEP_1) | instskip(SKIP_1) | instid1(VALU_DEP_1)
	s_cmp_lg_u32 s2, 0
	s_add_co_ci_u32 s6, s3, s5
	v_readfirstlane_b32 s7, v1
	s_wait_kmcnt 0x0
	s_add_nc_u64 s[2:3], s[12:13], -1
	s_wait_alu 0xfffe
	s_mul_hi_u32 s5, s2, s6
	s_mul_i32 s4, s2, s6
	s_mul_hi_u32 s14, s2, s7
	s_mul_hi_u32 s17, s3, s7
	s_mul_i32 s7, s3, s7
	s_wait_alu 0xfffe
	s_add_nc_u64 s[4:5], s[14:15], s[4:5]
	s_mul_hi_u32 s16, s3, s6
	s_wait_alu 0xfffe
	s_add_co_u32 s4, s4, s7
	s_add_co_ci_u32 s14, s5, s17
	s_mul_i32 s6, s3, s6
	s_add_co_ci_u32 s7, s16, 0
	s_delay_alu instid0(SALU_CYCLE_1) | instskip(SKIP_2) | instid1(SALU_CYCLE_1)
	s_add_nc_u64 s[4:5], s[14:15], s[6:7]
	s_wait_alu 0xfffe
	s_mul_u64 s[6:7], s[4:5], 5
	v_sub_co_u32 v1, s2, s2, s6
	s_delay_alu instid0(VALU_DEP_1) | instskip(SKIP_1) | instid1(VALU_DEP_1)
	s_cmp_lg_u32 s2, 0
	s_sub_co_ci_u32 s14, s3, s7
	v_sub_co_u32 v2, s6, v1, 5
	s_delay_alu instid0(VALU_DEP_1) | instskip(SKIP_2) | instid1(VALU_DEP_2)
	s_cmp_lg_u32 s6, 0
	v_readfirstlane_b32 s17, v1
	s_sub_co_ci_u32 s6, s14, 0
	v_readfirstlane_b32 s2, v2
	s_delay_alu instid0(VALU_DEP_1)
	s_cmp_gt_u32 s2, 4
	s_add_nc_u64 s[2:3], s[4:5], 1
	s_cselect_b32 s16, -1, 0
	s_wait_alu 0xfffe
	s_cmp_eq_u32 s6, 0
	s_add_nc_u64 s[6:7], s[4:5], 2
	s_cselect_b32 s16, s16, -1
	s_delay_alu instid0(SALU_CYCLE_1)
	s_cmp_lg_u32 s16, 0
	s_wait_alu 0xfffe
	s_cselect_b32 s2, s6, s2
	s_cselect_b32 s3, s7, s3
	s_cmp_gt_u32 s17, 4
	s_cselect_b32 s6, -1, 0
	s_cmp_eq_u32 s14, 0
	s_mov_b32 s14, ttmp9
	s_wait_alu 0xfffe
	s_cselect_b32 s6, s6, -1
	s_wait_alu 0xfffe
	s_cmp_lg_u32 s6, 0
	s_cselect_b32 s3, s3, s5
	s_cselect_b32 s2, s2, s4
	s_wait_alu 0xfffe
	s_add_nc_u64 s[16:17], s[2:3], 1
	s_delay_alu instid0(SALU_CYCLE_1) | instskip(NEXT) | instid1(VALU_DEP_1)
	v_cmp_lt_u64_e64 s2, s[14:15], s[16:17]
	s_and_b32 vcc_lo, exec_lo, s2
	s_cbranch_vccnz .LBB0_2
; %bb.1:
	v_cvt_f32_u32_e32 v1, s16
	s_sub_co_i32 s3, 0, s16
	s_mov_b32 s25, s15
	s_delay_alu instid0(VALU_DEP_1) | instskip(NEXT) | instid1(TRANS32_DEP_1)
	v_rcp_iflag_f32_e32 v1, v1
	v_mul_f32_e32 v1, 0x4f7ffffe, v1
	s_delay_alu instid0(VALU_DEP_1) | instskip(NEXT) | instid1(VALU_DEP_1)
	v_cvt_u32_f32_e32 v1, v1
	v_readfirstlane_b32 s2, v1
	s_wait_alu 0xfffe
	s_delay_alu instid0(VALU_DEP_1)
	s_mul_i32 s3, s3, s2
	s_wait_alu 0xfffe
	s_mul_hi_u32 s3, s2, s3
	s_wait_alu 0xfffe
	s_add_co_i32 s2, s2, s3
	s_wait_alu 0xfffe
	s_mul_hi_u32 s2, s14, s2
	s_wait_alu 0xfffe
	s_mul_i32 s3, s2, s16
	s_add_co_i32 s4, s2, 1
	s_wait_alu 0xfffe
	s_sub_co_i32 s3, s14, s3
	s_wait_alu 0xfffe
	s_sub_co_i32 s5, s3, s16
	s_cmp_ge_u32 s3, s16
	s_cselect_b32 s2, s4, s2
	s_wait_alu 0xfffe
	s_cselect_b32 s3, s5, s3
	s_add_co_i32 s4, s2, 1
	s_wait_alu 0xfffe
	s_cmp_ge_u32 s3, s16
	s_cselect_b32 s24, s4, s2
.LBB0_2:
	s_load_b64 s[22:23], s[0:1], 0x10
	s_load_b128 s[4:7], s[10:11], 0x0
	s_clause 0x1
	s_load_b64 s[2:3], s[0:1], 0x58
	s_load_b64 s[0:1], s[0:1], 0x0
	s_mul_u64 s[18:19], s[24:25], s[16:17]
	s_delay_alu instid0(SALU_CYCLE_1) | instskip(NEXT) | instid1(SALU_CYCLE_1)
	s_sub_nc_u64 s[18:19], s[14:15], s[18:19]
	s_mul_u64 s[20:21], s[18:19], 5
	s_wait_kmcnt 0x0
	v_cmp_lt_u64_e64 s5, s[22:23], 3
	s_mul_u64 s[18:19], s[6:7], s[20:21]
	s_delay_alu instid0(VALU_DEP_1)
	s_and_b32 vcc_lo, exec_lo, s5
	s_cbranch_vccnz .LBB0_12
; %bb.3:
	s_add_nc_u64 s[26:27], s[10:11], 16
	s_add_nc_u64 s[8:9], s[8:9], 16
	s_mov_b64 s[28:29], 2
	s_mov_b32 s30, 0
.LBB0_4:                                ; =>This Inner Loop Header: Depth=1
	s_load_b64 s[34:35], s[8:9], 0x0
                                        ; implicit-def: $sgpr38_sgpr39
	s_wait_kmcnt 0x0
	s_or_b64 s[36:37], s[24:25], s[34:35]
	s_delay_alu instid0(SALU_CYCLE_1)
	s_mov_b32 s31, s37
	s_mov_b32 s37, -1
	s_cmp_lg_u64 s[30:31], 0
	s_cbranch_scc0 .LBB0_6
; %bb.5:                                ;   in Loop: Header=BB0_4 Depth=1
	s_cvt_f32_u32 s5, s34
	s_cvt_f32_u32 s31, s35
	s_sub_nc_u64 s[40:41], 0, s[34:35]
	s_mov_b32 s37, 0
	s_mov_b32 s45, s30
	s_wait_alu 0xfffe
	s_fmamk_f32 s5, s31, 0x4f800000, s5
	s_wait_alu 0xfffe
	s_delay_alu instid0(SALU_CYCLE_2) | instskip(NEXT) | instid1(TRANS32_DEP_1)
	v_s_rcp_f32 s5, s5
	s_mul_f32 s5, s5, 0x5f7ffffc
	s_wait_alu 0xfffe
	s_delay_alu instid0(SALU_CYCLE_2) | instskip(NEXT) | instid1(SALU_CYCLE_3)
	s_mul_f32 s31, s5, 0x2f800000
	s_trunc_f32 s31, s31
	s_delay_alu instid0(SALU_CYCLE_3) | instskip(SKIP_2) | instid1(SALU_CYCLE_1)
	s_fmamk_f32 s5, s31, 0xcf800000, s5
	s_cvt_u32_f32 s39, s31
	s_wait_alu 0xfffe
	s_cvt_u32_f32 s38, s5
	s_wait_alu 0xfffe
	s_delay_alu instid0(SALU_CYCLE_2)
	s_mul_u64 s[42:43], s[40:41], s[38:39]
	s_wait_alu 0xfffe
	s_mul_hi_u32 s47, s38, s43
	s_mul_i32 s46, s38, s43
	s_mul_hi_u32 s36, s38, s42
	s_mul_i32 s31, s39, s42
	s_add_nc_u64 s[46:47], s[36:37], s[46:47]
	s_mul_hi_u32 s5, s39, s42
	s_mul_hi_u32 s33, s39, s43
	s_add_co_u32 s31, s46, s31
	s_wait_alu 0xfffe
	s_add_co_ci_u32 s44, s47, s5
	s_mul_i32 s42, s39, s43
	s_add_co_ci_u32 s43, s33, 0
	s_wait_alu 0xfffe
	s_add_nc_u64 s[42:43], s[44:45], s[42:43]
	s_wait_alu 0xfffe
	v_add_co_u32 v1, s5, s38, s42
	s_delay_alu instid0(VALU_DEP_1) | instskip(SKIP_1) | instid1(VALU_DEP_1)
	s_cmp_lg_u32 s5, 0
	s_add_co_ci_u32 s39, s39, s43
	v_readfirstlane_b32 s38, v1
	s_mov_b32 s43, s30
	s_wait_alu 0xfffe
	s_delay_alu instid0(VALU_DEP_1)
	s_mul_u64 s[40:41], s[40:41], s[38:39]
	s_wait_alu 0xfffe
	s_mul_hi_u32 s45, s38, s41
	s_mul_i32 s44, s38, s41
	s_mul_hi_u32 s36, s38, s40
	s_mul_i32 s31, s39, s40
	s_add_nc_u64 s[44:45], s[36:37], s[44:45]
	s_mul_hi_u32 s5, s39, s40
	s_mul_hi_u32 s33, s39, s41
	s_add_co_u32 s31, s44, s31
	s_wait_alu 0xfffe
	s_add_co_ci_u32 s42, s45, s5
	s_mul_i32 s40, s39, s41
	s_add_co_ci_u32 s41, s33, 0
	s_wait_alu 0xfffe
	s_add_nc_u64 s[40:41], s[42:43], s[40:41]
	s_wait_alu 0xfffe
	v_add_co_u32 v1, s5, v1, s40
	s_delay_alu instid0(VALU_DEP_1) | instskip(SKIP_1) | instid1(VALU_DEP_1)
	s_cmp_lg_u32 s5, 0
	s_add_co_ci_u32 s5, s39, s41
	v_readfirstlane_b32 s31, v1
	s_wait_alu 0xfffe
	s_mul_hi_u32 s39, s24, s5
	s_mul_i32 s38, s24, s5
	s_mul_hi_u32 s33, s25, s5
	s_mul_i32 s40, s25, s5
	s_mul_hi_u32 s36, s24, s31
	s_mul_i32 s5, s25, s31
	s_wait_alu 0xfffe
	s_add_nc_u64 s[38:39], s[36:37], s[38:39]
	s_mul_hi_u32 s31, s25, s31
	s_wait_alu 0xfffe
	s_add_co_u32 s5, s38, s5
	s_add_co_ci_u32 s42, s39, s31
	s_add_co_ci_u32 s41, s33, 0
	s_wait_alu 0xfffe
	s_add_nc_u64 s[38:39], s[42:43], s[40:41]
	s_wait_alu 0xfffe
	s_mul_u64 s[40:41], s[34:35], s[38:39]
	s_add_nc_u64 s[42:43], s[38:39], 1
	s_wait_alu 0xfffe
	v_sub_co_u32 v1, s5, s24, s40
	s_sub_co_i32 s31, s25, s41
	s_cmp_lg_u32 s5, 0
	s_add_nc_u64 s[44:45], s[38:39], 2
	s_delay_alu instid0(VALU_DEP_1) | instskip(SKIP_2) | instid1(VALU_DEP_1)
	v_sub_co_u32 v2, s33, v1, s34
	s_sub_co_ci_u32 s31, s31, s35
	s_cmp_lg_u32 s33, 0
	v_readfirstlane_b32 s33, v2
	s_sub_co_ci_u32 s31, s31, 0
	s_delay_alu instid0(SALU_CYCLE_1) | instskip(SKIP_1) | instid1(VALU_DEP_1)
	s_cmp_ge_u32 s31, s35
	s_cselect_b32 s36, -1, 0
	s_cmp_ge_u32 s33, s34
	s_cselect_b32 s33, -1, 0
	s_cmp_eq_u32 s31, s35
	s_cselect_b32 s31, s33, s36
	s_delay_alu instid0(SALU_CYCLE_1)
	s_cmp_lg_u32 s31, 0
	s_cselect_b32 s31, s44, s42
	s_cselect_b32 s33, s45, s43
	s_cmp_lg_u32 s5, 0
	v_readfirstlane_b32 s5, v1
	s_sub_co_ci_u32 s36, s25, s41
	s_delay_alu instid0(SALU_CYCLE_1) | instskip(SKIP_1) | instid1(VALU_DEP_1)
	s_cmp_ge_u32 s36, s35
	s_cselect_b32 s40, -1, 0
	s_cmp_ge_u32 s5, s34
	s_cselect_b32 s5, -1, 0
	s_cmp_eq_u32 s36, s35
	s_wait_alu 0xfffe
	s_cselect_b32 s5, s5, s40
	s_wait_alu 0xfffe
	s_cmp_lg_u32 s5, 0
	s_cselect_b32 s39, s33, s39
	s_cselect_b32 s38, s31, s38
.LBB0_6:                                ;   in Loop: Header=BB0_4 Depth=1
	s_and_not1_b32 vcc_lo, exec_lo, s37
	s_cbranch_vccnz .LBB0_8
; %bb.7:                                ;   in Loop: Header=BB0_4 Depth=1
	v_cvt_f32_u32_e32 v1, s34
	s_sub_co_i32 s31, 0, s34
	s_mov_b32 s39, s30
	s_delay_alu instid0(VALU_DEP_1) | instskip(NEXT) | instid1(TRANS32_DEP_1)
	v_rcp_iflag_f32_e32 v1, v1
	v_mul_f32_e32 v1, 0x4f7ffffe, v1
	s_delay_alu instid0(VALU_DEP_1) | instskip(NEXT) | instid1(VALU_DEP_1)
	v_cvt_u32_f32_e32 v1, v1
	v_readfirstlane_b32 s5, v1
	s_delay_alu instid0(VALU_DEP_1) | instskip(NEXT) | instid1(SALU_CYCLE_1)
	s_mul_i32 s31, s31, s5
	s_mul_hi_u32 s31, s5, s31
	s_delay_alu instid0(SALU_CYCLE_1)
	s_add_co_i32 s5, s5, s31
	s_wait_alu 0xfffe
	s_mul_hi_u32 s5, s24, s5
	s_wait_alu 0xfffe
	s_mul_i32 s31, s5, s34
	s_add_co_i32 s33, s5, 1
	s_sub_co_i32 s31, s24, s31
	s_delay_alu instid0(SALU_CYCLE_1)
	s_sub_co_i32 s36, s31, s34
	s_cmp_ge_u32 s31, s34
	s_cselect_b32 s5, s33, s5
	s_cselect_b32 s31, s36, s31
	s_wait_alu 0xfffe
	s_add_co_i32 s33, s5, 1
	s_cmp_ge_u32 s31, s34
	s_cselect_b32 s38, s33, s5
.LBB0_8:                                ;   in Loop: Header=BB0_4 Depth=1
	s_load_b64 s[36:37], s[26:27], 0x0
	s_add_nc_u64 s[28:29], s[28:29], 1
	s_mul_u64 s[16:17], s[34:35], s[16:17]
	s_wait_alu 0xfffe
	v_cmp_ge_u64_e64 s5, s[28:29], s[22:23]
	s_mul_u64 s[34:35], s[38:39], s[34:35]
	s_add_nc_u64 s[26:27], s[26:27], 8
	s_wait_alu 0xfffe
	s_sub_nc_u64 s[24:25], s[24:25], s[34:35]
	s_add_nc_u64 s[8:9], s[8:9], 8
	s_and_b32 vcc_lo, exec_lo, s5
	s_wait_kmcnt 0x0
	s_wait_alu 0xfffe
	s_mul_u64 s[24:25], s[36:37], s[24:25]
	s_wait_alu 0xfffe
	s_add_nc_u64 s[18:19], s[24:25], s[18:19]
	s_cbranch_vccnz .LBB0_10
; %bb.9:                                ;   in Loop: Header=BB0_4 Depth=1
	s_mov_b64 s[24:25], s[38:39]
	s_branch .LBB0_4
.LBB0_10:
	v_cmp_lt_u64_e64 s5, s[14:15], s[16:17]
	s_mov_b64 s[24:25], 0
	s_delay_alu instid0(VALU_DEP_1)
	s_and_b32 vcc_lo, exec_lo, s5
	s_cbranch_vccnz .LBB0_12
; %bb.11:
	v_cvt_f32_u32_e32 v1, s16
	s_sub_co_i32 s8, 0, s16
	s_mov_b32 s25, 0
	s_delay_alu instid0(VALU_DEP_1) | instskip(NEXT) | instid1(TRANS32_DEP_1)
	v_rcp_iflag_f32_e32 v1, v1
	v_mul_f32_e32 v1, 0x4f7ffffe, v1
	s_delay_alu instid0(VALU_DEP_1) | instskip(NEXT) | instid1(VALU_DEP_1)
	v_cvt_u32_f32_e32 v1, v1
	v_readfirstlane_b32 s5, v1
	s_delay_alu instid0(VALU_DEP_1) | instskip(NEXT) | instid1(SALU_CYCLE_1)
	s_mul_i32 s8, s8, s5
	s_mul_hi_u32 s8, s5, s8
	s_delay_alu instid0(SALU_CYCLE_1)
	s_add_co_i32 s5, s5, s8
	s_wait_alu 0xfffe
	s_mul_hi_u32 s5, s14, s5
	s_wait_alu 0xfffe
	s_mul_i32 s8, s5, s16
	s_add_co_i32 s9, s5, 1
	s_sub_co_i32 s8, s14, s8
	s_delay_alu instid0(SALU_CYCLE_1)
	s_sub_co_i32 s14, s8, s16
	s_cmp_ge_u32 s8, s16
	s_cselect_b32 s5, s9, s5
	s_wait_alu 0xfffe
	s_cselect_b32 s8, s14, s8
	s_add_co_i32 s9, s5, 1
	s_cmp_ge_u32 s8, s16
	s_cselect_b32 s24, s9, s5
.LBB0_12:
	v_mul_u32_u24_e32 v1, 0x3334, v0
	s_lshl_b64 s[8:9], s[22:23], 3
	s_delay_alu instid0(SALU_CYCLE_1) | instskip(SKIP_1) | instid1(VALU_DEP_1)
	s_add_nc_u64 s[8:9], s[10:11], s[8:9]
	s_add_nc_u64 s[10:11], s[20:21], 5
	v_lshrrev_b32_e32 v3, 16, v1
	s_load_b64 s[8:9], s[8:9], 0x0
	s_delay_alu instid0(VALU_DEP_1) | instskip(NEXT) | instid1(VALU_DEP_1)
	v_mul_lo_u16 v1, v3, 5
	v_sub_nc_u16 v1, v0, v1
	s_delay_alu instid0(VALU_DEP_1) | instskip(NEXT) | instid1(VALU_DEP_1)
	v_and_b32_e32 v4, 0xffff, v1
	v_add_co_u32 v5, s5, s20, v4
	s_wait_alu 0xf1ff
	v_add_co_ci_u32_e64 v6, null, s21, 0, s5
	v_cmp_le_u64_e64 s5, s[10:11], s[12:13]
	s_delay_alu instid0(VALU_DEP_2) | instskip(SKIP_2) | instid1(VALU_DEP_4)
	v_cmp_gt_u64_e32 vcc_lo, s[12:13], v[5:6]
	v_mov_b32_e32 v5, 0
	v_mad_co_u64_u32 v[1:2], null, s6, v4, 0
	s_or_b32 s5, s5, vcc_lo
	s_delay_alu instid0(VALU_DEP_1)
	v_mad_co_u64_u32 v[7:8], null, s7, v4, v[2:3]
	v_mov_b32_e32 v2, 0
	s_wait_kmcnt 0x0
	s_mul_u64 s[6:7], s[8:9], s[24:25]
	s_wait_alu 0xfffe
	s_add_nc_u64 s[6:7], s[6:7], s[18:19]
	s_and_saveexec_b32 s7, s5
	s_cbranch_execz .LBB0_14
; %bb.13:
	v_mul_lo_u32 v2, s4, v3
	v_mov_b32_e32 v7, 0
	s_wait_alu 0xfffe
	s_delay_alu instid0(VALU_DEP_2) | instskip(NEXT) | instid1(VALU_DEP_1)
	v_add3_u32 v6, s6, v1, v2
	v_lshlrev_b64_e32 v[6:7], 2, v[6:7]
	s_delay_alu instid0(VALU_DEP_1) | instskip(NEXT) | instid1(VALU_DEP_2)
	v_add_co_u32 v6, vcc_lo, s2, v6
	v_add_co_ci_u32_e32 v7, vcc_lo, s3, v7, vcc_lo
	global_load_b32 v2, v[6:7], off
.LBB0_14:
	s_wait_alu 0xfffe
	s_or_b32 exec_lo, exec_lo, s7
	s_and_saveexec_b32 s7, s5
	s_cbranch_execz .LBB0_16
; %bb.15:
	v_dual_mov_b32 v6, 0 :: v_dual_add_nc_u32 v5, 49, v3
	s_delay_alu instid0(VALU_DEP_1) | instskip(NEXT) | instid1(VALU_DEP_1)
	v_mul_lo_u32 v5, s4, v5
	v_add3_u32 v5, s6, v1, v5
	s_delay_alu instid0(VALU_DEP_1) | instskip(NEXT) | instid1(VALU_DEP_1)
	v_lshlrev_b64_e32 v[5:6], 2, v[5:6]
	v_add_co_u32 v5, vcc_lo, s2, v5
	s_wait_alu 0xfffd
	s_delay_alu instid0(VALU_DEP_2)
	v_add_co_ci_u32_e32 v6, vcc_lo, s3, v6, vcc_lo
	global_load_b32 v5, v[5:6], off
.LBB0_16:
	s_wait_alu 0xfffe
	s_or_b32 exec_lo, exec_lo, s7
	v_dual_mov_b32 v7, 0 :: v_dual_mov_b32 v6, 0
	s_and_saveexec_b32 s7, s5
	s_cbranch_execz .LBB0_18
; %bb.17:
	v_dual_mov_b32 v9, 0 :: v_dual_add_nc_u32 v6, 0x62, v3
	s_delay_alu instid0(VALU_DEP_1) | instskip(NEXT) | instid1(VALU_DEP_1)
	v_mul_lo_u32 v6, s4, v6
	v_add3_u32 v8, s6, v1, v6
	s_delay_alu instid0(VALU_DEP_1) | instskip(NEXT) | instid1(VALU_DEP_1)
	v_lshlrev_b64_e32 v[8:9], 2, v[8:9]
	v_add_co_u32 v8, vcc_lo, s2, v8
	s_wait_alu 0xfffd
	s_delay_alu instid0(VALU_DEP_2)
	v_add_co_ci_u32_e32 v9, vcc_lo, s3, v9, vcc_lo
	global_load_b32 v6, v[8:9], off
.LBB0_18:
	s_wait_alu 0xfffe
	s_or_b32 exec_lo, exec_lo, s7
	s_and_saveexec_b32 s7, s5
	s_cbranch_execz .LBB0_20
; %bb.19:
	v_dual_mov_b32 v8, 0 :: v_dual_add_nc_u32 v7, 0x93, v3
	s_delay_alu instid0(VALU_DEP_1) | instskip(NEXT) | instid1(VALU_DEP_1)
	v_mul_lo_u32 v7, s4, v7
	v_add3_u32 v7, s6, v1, v7
	s_delay_alu instid0(VALU_DEP_1) | instskip(NEXT) | instid1(VALU_DEP_1)
	v_lshlrev_b64_e32 v[7:8], 2, v[7:8]
	v_add_co_u32 v7, vcc_lo, s2, v7
	s_wait_alu 0xfffd
	s_delay_alu instid0(VALU_DEP_2)
	v_add_co_ci_u32_e32 v8, vcc_lo, s3, v8, vcc_lo
	global_load_b32 v7, v[7:8], off
.LBB0_20:
	s_wait_alu 0xfffe
	s_or_b32 exec_lo, exec_lo, s7
	v_dual_mov_b32 v8, 0 :: v_dual_mov_b32 v9, 0
	s_and_saveexec_b32 s7, s5
	s_cbranch_execnz .LBB0_27
; %bb.21:
	s_wait_alu 0xfffe
	s_or_b32 exec_lo, exec_lo, s7
	s_and_saveexec_b32 s7, s5
	s_cbranch_execnz .LBB0_28
.LBB0_22:
	s_wait_alu 0xfffe
	s_or_b32 exec_lo, exec_lo, s7
	v_mov_b32_e32 v10, 0
	s_and_saveexec_b32 s7, s5
	s_cbranch_execz .LBB0_24
.LBB0_23:
	v_dual_mov_b32 v11, 0 :: v_dual_add_nc_u32 v10, 0x126, v3
	s_delay_alu instid0(VALU_DEP_1) | instskip(NEXT) | instid1(VALU_DEP_1)
	v_mul_lo_u32 v10, s4, v10
	v_add3_u32 v10, s6, v1, v10
	s_delay_alu instid0(VALU_DEP_1) | instskip(NEXT) | instid1(VALU_DEP_1)
	v_lshlrev_b64_e32 v[10:11], 2, v[10:11]
	v_add_co_u32 v10, vcc_lo, s2, v10
	s_wait_alu 0xfffd
	s_delay_alu instid0(VALU_DEP_2)
	v_add_co_ci_u32_e32 v11, vcc_lo, s3, v11, vcc_lo
	global_load_b32 v10, v[10:11], off
.LBB0_24:
	s_wait_alu 0xfffe
	s_or_b32 exec_lo, exec_lo, s7
	s_wait_loadcnt 0x0
	v_lshrrev_b32_e32 v11, 16, v10
	v_lshrrev_b32_e32 v12, 16, v5
	v_bfi_b32 v13, 0xffff, v7, v8
	v_bfi_b32 v14, 0xffff, v5, v7
	;; [unrolled: 1-line block ×4, first 2 shown]
	v_add_f16_e32 v11, v12, v11
	v_add_f16_e32 v12, v6, v8
	v_pk_add_f16 v5, v5, v10 op_sel:[1,1] op_sel_hi:[0,0] neg_lo:[0,1] neg_hi:[0,1]
	v_pk_add_f16 v13, v15, v13
	v_pk_add_f16 v14, v14, v16
	v_pk_add_f16 v7, v9, v7 op_sel:[1,1] op_sel_hi:[0,0] neg_lo:[0,1] neg_hi:[0,1]
	v_pk_add_f16 v6, v6, v8 op_sel:[1,1] op_sel_hi:[0,0] neg_lo:[0,1] neg_hi:[0,1]
	s_delay_alu instid0(VALU_DEP_4) | instskip(NEXT) | instid1(VALU_DEP_4)
	v_bfi_b32 v15, 0xffff, v12, v13
	v_pack_b32_f16 v16, v14, v11
	v_pack_b32_f16 v11, v13, v11
	v_bfi_b32 v12, 0xffff, v12, v14
	v_bfi_b32 v10, 0xffff, v13, v14
	;; [unrolled: 1-line block ×3, first 2 shown]
	v_pk_add_f16 v8, v15, v16
	v_bfi_b32 v18, 0xffff, v7, v6
	v_pk_add_f16 v9, v11, v12 neg_lo:[0,1] neg_hi:[0,1]
	v_bfi_b32 v11, 0xffff, v7, v5
	v_bfi_b32 v12, 0xffff, v6, v7
	v_pk_add_f16 v8, v10, v8
	v_pk_add_f16 v10, v14, v13 neg_lo:[0,1] neg_hi:[0,1]
	v_pk_mul_f16 v9, 0x3a522b26, v9
	v_pk_add_f16 v7, v7, v6
	v_pk_add_f16 v11, v11, v12 neg_lo:[0,1] neg_hi:[0,1]
	v_pk_add_f16 v12, v17, v18 neg_lo:[0,1] neg_hi:[0,1]
	v_lshlrev_b32_e32 v18, 2, v4
	v_pk_fma_f16 v13, 0x2b263a52, v10, v9
	v_pk_mul_f16 v4, 0x2b263a52, v10
	v_pk_mul_f16 v11, 0xb5743846, v11
	;; [unrolled: 1-line block ×3, first 2 shown]
	v_pk_add_f16 v7, v7, v5
	v_pk_add_f16 v15, v15, v16 neg_lo:[0,1] neg_hi:[0,1]
	v_pk_add_f16 v5, v6, v5 neg_lo:[0,1] neg_hi:[0,1]
	v_bfi_b32 v6, 0xffff, v4, v9
	v_bfi_b32 v16, 0xffff, v10, v11
	;; [unrolled: 1-line block ×4, first 2 shown]
	v_mul_lo_u16 v10, v3, 37
	v_pk_add_f16 v2, v8, v2
	v_pk_fma_f16 v14, 0x3846b574, v12, v11
	v_pk_fma_f16 v6, 0x39e0, v15, v6 op_sel_hi:[0,1,1] neg_lo:[0,1,1] neg_hi:[0,1,1]
	v_pk_fma_f16 v11, 0xbb00, v5, v16 op_sel_hi:[0,1,1] neg_lo:[0,1,1] neg_hi:[0,1,1]
	;; [unrolled: 1-line block ×4, first 2 shown]
	v_lshrrev_b16 v15, 8, v10
	v_pk_fma_f16 v8, 0xbcab, v8, v2 op_sel_hi:[0,1,1]
	v_pk_fma_f16 v14, 0xb70e, v7, v14 op_sel_hi:[0,1,1]
	;; [unrolled: 1-line block ×4, first 2 shown]
	v_mul_lo_u16 v7, v15, 7
	v_pk_add_f16 v13, v13, v8
	v_pk_add_f16 v6, v6, v8
	;; [unrolled: 1-line block ×3, first 2 shown]
	v_mul_u32_u24_e32 v17, 0x8c, v3
	v_sub_nc_u16 v7, v3, v7
	v_pk_add_f16 v12, v13, v14
	v_pk_add_f16 v8, v13, v14 neg_lo:[0,1] neg_hi:[0,1]
	v_pk_add_f16 v10, v6, v9
	v_pk_add_f16 v6, v6, v9 neg_lo:[0,1] neg_hi:[0,1]
	v_pk_add_f16 v9, v4, v5 neg_lo:[0,1] neg_hi:[0,1]
	v_pk_add_f16 v4, v4, v5
	v_and_b32_e32 v19, 0xff, v7
	v_add3_u32 v5, 0, v17, v18
	v_bfi_b32 v11, 0xffff, v12, v8
	v_bfi_b32 v13, 0xffff, v10, v6
	;; [unrolled: 1-line block ×4, first 2 shown]
	v_mul_u32_u24_e32 v9, 6, v19
	v_bfi_b32 v6, 0xffff, v6, v10
	v_bfi_b32 v8, 0xffff, v8, v12
	ds_store_2addr_b32 v5, v2, v11 offset1:5
	ds_store_2addr_b32 v5, v13, v7 offset0:10 offset1:15
	ds_store_2addr_b32 v5, v4, v6 offset0:20 offset1:25
	ds_store_b32 v5, v8 offset:120
	v_lshlrev_b32_e32 v2, 2, v9
	global_wb scope:SCOPE_SE
	s_wait_dscnt 0x0
	s_barrier_signal -1
	s_barrier_wait -1
	global_inv scope:SCOPE_SE
	s_clause 0x1
	global_load_b128 v[6:9], v2, s[0:1]
	global_load_b64 v[10:11], v2, s[0:1] offset:16
	v_mad_i32_i24 v2, 0xffffff88, v3, v5
	v_and_b32_e32 v20, 0xffff, v15
	s_delay_alu instid0(VALU_DEP_2)
	v_add_nc_u32_e32 v4, 0x780, v2
	v_add_nc_u32_e32 v5, 0xf40, v2
	ds_load_2addr_b32 v[12:13], v2 offset1:245
	ds_load_2addr_b32 v[14:15], v4 offset0:10 offset1:255
	ds_load_2addr_b32 v[16:17], v5 offset0:4 offset1:249
	ds_load_b32 v21, v2 offset:5880
	v_mad_u32_u24 v19, v20, 49, v19
	global_wb scope:SCOPE_SE
	s_wait_loadcnt_dscnt 0x0
	s_barrier_signal -1
	s_barrier_wait -1
	global_inv scope:SCOPE_SE
	v_mul_u32_u24_e32 v19, 20, v19
	s_delay_alu instid0(VALU_DEP_1)
	v_add3_u32 v18, 0, v19, v18
	v_lshrrev_b32_e32 v19, 16, v13
	v_lshrrev_b32_e32 v20, 16, v14
	;; [unrolled: 1-line block ×13, first 2 shown]
	v_mul_f16_e32 v33, v27, v19
	v_mul_f16_e32 v27, v27, v13
	;; [unrolled: 1-line block ×12, first 2 shown]
	v_fmac_f16_e32 v33, v6, v13
	v_fma_f16 v6, v6, v19, -v27
	v_fmac_f16_e32 v34, v7, v14
	v_fma_f16 v7, v7, v20, -v28
	;; [unrolled: 2-line block ×6, first 2 shown]
	v_add_f16_e32 v13, v33, v38
	v_add_f16_e32 v14, v6, v11
	v_sub_f16_e32 v6, v6, v11
	v_add_f16_e32 v11, v34, v37
	v_add_f16_e32 v16, v7, v10
	v_sub_f16_e32 v17, v34, v37
	v_sub_f16_e32 v7, v7, v10
	v_add_f16_e32 v10, v35, v36
	v_add_f16_e32 v19, v8, v9
	v_sub_f16_e32 v20, v36, v35
	v_sub_f16_e32 v8, v9, v8
	v_add_f16_e32 v9, v11, v13
	v_add_f16_e32 v21, v16, v14
	v_sub_f16_e32 v15, v33, v38
	v_sub_f16_e32 v22, v11, v13
	v_sub_f16_e32 v23, v16, v14
	;; [unrolled: 1-line block ×6, first 2 shown]
	v_add_f16_e32 v24, v20, v17
	v_add_f16_e32 v25, v8, v7
	v_sub_f16_e32 v27, v20, v17
	v_sub_f16_e32 v28, v8, v7
	v_add_f16_e32 v9, v10, v9
	v_add_f16_e32 v10, v19, v21
	v_sub_f16_e32 v17, v17, v15
	v_sub_f16_e32 v7, v7, v6
	;; [unrolled: 1-line block ×4, first 2 shown]
	v_add_f16_e32 v15, v24, v15
	v_add_f16_e32 v6, v25, v6
	v_mul_f16_e32 v13, 0x3a52, v13
	v_mul_f16_e32 v14, 0x3a52, v14
	;; [unrolled: 1-line block ×6, first 2 shown]
	v_add_f16_e32 v12, v9, v12
	v_add_f16_e32 v26, v10, v26
	v_mul_f16_e32 v27, 0xbb00, v17
	v_mul_f16_e32 v28, 0xbb00, v7
	v_fmamk_f16 v11, v11, 0x2b26, v13
	v_fmamk_f16 v16, v16, 0x2b26, v14
	v_fma_f16 v19, v22, 0x39e0, -v19
	v_fma_f16 v21, v23, 0x39e0, -v21
	;; [unrolled: 1-line block ×4, first 2 shown]
	v_fmamk_f16 v22, v20, 0xb574, v24
	v_fmamk_f16 v23, v8, 0xb574, v25
	v_fma_f16 v17, v17, 0xbb00, -v24
	v_fma_f16 v7, v7, 0xbb00, -v25
	v_lshlrev_b32_e32 v24, 16, v26
	v_and_b32_e32 v25, 0xffff, v12
	v_fmac_f16_e32 v12, 0xbcab, v9
	v_fmac_f16_e32 v26, 0xbcab, v10
	v_fma_f16 v20, v20, 0x3574, -v27
	v_fma_f16 v8, v8, 0x3574, -v28
	v_fmac_f16_e32 v22, 0xb70e, v15
	v_fmac_f16_e32 v23, 0xb70e, v6
	v_add_f16_e32 v9, v11, v12
	v_add_f16_e32 v10, v16, v26
	v_fmac_f16_e32 v17, 0xb70e, v15
	v_fmac_f16_e32 v7, 0xb70e, v6
	;; [unrolled: 1-line block ×4, first 2 shown]
	v_add_f16_e32 v11, v19, v12
	v_add_f16_e32 v12, v13, v12
	;; [unrolled: 1-line block ×5, first 2 shown]
	v_sub_f16_e32 v16, v10, v22
	v_or_b32_e32 v6, v24, v25
	v_add_f16_e32 v19, v8, v12
	v_sub_f16_e32 v21, v13, v20
	v_sub_f16_e32 v24, v11, v7
	v_add_f16_e32 v25, v17, v14
	v_add_f16_e32 v7, v7, v11
	v_sub_f16_e32 v11, v14, v17
	v_sub_f16_e32 v8, v12, v8
	v_add_f16_e32 v12, v20, v13
	v_sub_f16_e32 v9, v9, v23
	v_add_f16_e32 v10, v22, v10
	v_pack_b32_f16 v13, v15, v16
	v_pack_b32_f16 v14, v19, v21
	;; [unrolled: 1-line block ×6, first 2 shown]
	ds_store_2addr_b32 v18, v6, v13 offset1:35
	ds_store_2addr_b32 v18, v14, v15 offset0:70 offset1:105
	ds_store_2addr_b32 v18, v7, v8 offset0:140 offset1:175
	ds_store_b32 v18, v9 offset:840
	global_wb scope:SCOPE_SE
	s_wait_dscnt 0x0
	s_barrier_signal -1
	s_barrier_wait -1
	global_inv scope:SCOPE_SE
	s_and_saveexec_b32 s7, s5
	s_cbranch_execz .LBB0_26
; %bb.25:
	v_mul_lo_u16 v6, v3, 21
	v_and_b32_e32 v0, 0xffff, v0
	s_delay_alu instid0(VALU_DEP_2) | instskip(NEXT) | instid1(VALU_DEP_2)
	v_lshrrev_b16 v6, 10, v6
	v_mul_u32_u24_e32 v0, 0x10c, v0
	s_delay_alu instid0(VALU_DEP_2) | instskip(NEXT) | instid1(VALU_DEP_2)
	v_mul_lo_u16 v6, v6, 49
	v_lshrrev_b32_e32 v0, 16, v0
	s_delay_alu instid0(VALU_DEP_2) | instskip(NEXT) | instid1(VALU_DEP_1)
	v_sub_nc_u16 v3, v3, v6
	v_and_b32_e32 v16, 0xff, v3
	s_delay_alu instid0(VALU_DEP_1) | instskip(NEXT) | instid1(VALU_DEP_1)
	v_mul_u32_u24_e32 v3, 6, v16
	v_lshlrev_b32_e32 v3, 2, v3
	s_clause 0x1
	global_load_b128 v[6:9], v3, s[0:1] offset:168
	global_load_b64 v[10:11], v3, s[0:1] offset:184
	ds_load_2addr_b32 v[12:13], v5 offset0:4 offset1:249
	ds_load_2addr_b32 v[3:4], v4 offset0:10 offset1:255
	ds_load_2addr_b32 v[14:15], v2 offset1:245
	ds_load_b32 v5, v2 offset:5880
	v_mul_lo_u16 v2, 0x157, v0
	v_add_nc_u32_e32 v0, s6, v1
	s_delay_alu instid0(VALU_DEP_2) | instskip(NEXT) | instid1(VALU_DEP_1)
	v_and_b32_e32 v1, 0xffff, v2
	v_add_nc_u32_e32 v16, v16, v1
	s_delay_alu instid0(VALU_DEP_1)
	v_mad_co_u64_u32 v[1:2], null, s4, v16, v[0:1]
	v_mov_b32_e32 v2, 0
	v_add_nc_u32_e32 v20, 0x93, v16
	v_add_nc_u32_e32 v22, 0xc4, v16
	s_wait_dscnt 0x2
	v_lshrrev_b32_e32 v30, 16, v3
	v_lshrrev_b32_e32 v31, 16, v13
	s_wait_dscnt 0x1
	v_lshrrev_b32_e32 v32, 16, v15
	v_mad_co_u64_u32 v[20:21], null, s4, v20, v[0:1]
	v_mov_b32_e32 v21, v2
	v_mad_co_u64_u32 v[22:23], null, s4, v22, v[0:1]
	v_dual_mov_b32 v23, v2 :: v_dual_add_nc_u32 v24, 0xf5, v16
	v_add_nc_u32_e32 v17, 49, v16
	v_add_nc_u32_e32 v18, 0x62, v16
	;; [unrolled: 1-line block ×3, first 2 shown]
	s_wait_dscnt 0x0
	v_lshrrev_b32_e32 v33, 16, v5
	v_mad_co_u64_u32 v[24:25], null, s4, v24, v[0:1]
	v_mov_b32_e32 v25, v2
	v_mad_co_u64_u32 v[16:17], null, s4, v17, v[0:1]
	v_mad_co_u64_u32 v[18:19], null, s4, v18, v[0:1]
	;; [unrolled: 1-line block ×3, first 2 shown]
	v_mov_b32_e32 v17, v2
	v_mov_b32_e32 v19, v2
	v_mov_b32_e32 v27, v2
	v_lshlrev_b64_e32 v[0:1], 2, v[1:2]
	v_lshrrev_b32_e32 v28, 16, v12
	v_lshrrev_b32_e32 v29, 16, v4
	;; [unrolled: 1-line block ×3, first 2 shown]
	v_lshlrev_b64_e32 v[16:17], 2, v[16:17]
	v_lshlrev_b64_e32 v[18:19], 2, v[18:19]
	v_add_co_u32 v0, vcc_lo, s2, v0
	s_wait_alu 0xfffd
	v_add_co_ci_u32_e32 v1, vcc_lo, s3, v1, vcc_lo
	v_lshlrev_b64_e32 v[20:21], 2, v[20:21]
	v_add_co_u32 v16, vcc_lo, s2, v16
	s_wait_alu 0xfffd
	v_add_co_ci_u32_e32 v17, vcc_lo, s3, v17, vcc_lo
	;; [unrolled: 4-line block ×5, first 2 shown]
	v_add_co_u32 v24, vcc_lo, s2, v24
	s_wait_alu 0xfffd
	v_add_co_ci_u32_e32 v25, vcc_lo, s3, v25, vcc_lo
	v_add_co_u32 v26, vcc_lo, s2, v26
	s_wait_alu 0xfffd
	v_add_co_ci_u32_e32 v27, vcc_lo, s3, v27, vcc_lo
	s_wait_loadcnt 0x1
	v_lshrrev_b32_e32 v2, 16, v6
	v_lshrrev_b32_e32 v37, 16, v7
	s_wait_loadcnt 0x0
	v_lshrrev_b32_e32 v38, 16, v10
	v_lshrrev_b32_e32 v39, 16, v11
	v_lshrrev_b32_e32 v35, 16, v9
	v_lshrrev_b32_e32 v36, 16, v8
	v_mul_f16_e32 v42, v37, v30
	v_mul_f16_e32 v43, v38, v31
	v_mul_f16_e32 v44, v2, v32
	v_mul_f16_e32 v45, v39, v33
	v_mul_f16_e32 v37, v37, v3
	v_mul_f16_e32 v38, v38, v13
	v_mul_f16_e32 v2, v2, v15
	v_mul_f16_e32 v39, v39, v5
	v_mul_f16_e32 v40, v35, v28
	v_mul_f16_e32 v41, v36, v29
	v_mul_f16_e32 v36, v36, v4
	v_mul_f16_e32 v35, v35, v12
	v_fmac_f16_e32 v42, v7, v3
	v_fmac_f16_e32 v43, v10, v13
	;; [unrolled: 1-line block ×4, first 2 shown]
	v_fma_f16 v5, v7, v30, -v37
	v_fma_f16 v7, v10, v31, -v38
	;; [unrolled: 1-line block ×4, first 2 shown]
	v_fmac_f16_e32 v40, v9, v12
	v_fmac_f16_e32 v41, v8, v4
	v_fma_f16 v3, v8, v29, -v36
	v_fma_f16 v4, v9, v28, -v35
	v_add_f16_e32 v12, v5, v7
	v_add_f16_e32 v13, v2, v6
	;; [unrolled: 1-line block ×4, first 2 shown]
	v_sub_f16_e32 v8, v40, v41
	v_sub_f16_e32 v9, v42, v43
	;; [unrolled: 1-line block ×3, first 2 shown]
	v_add_f16_e32 v11, v3, v4
	v_add_f16_e32 v15, v41, v40
	v_sub_f16_e32 v3, v4, v3
	v_sub_f16_e32 v4, v5, v7
	;; [unrolled: 1-line block ×3, first 2 shown]
	v_add_f16_e32 v31, v12, v13
	v_add_f16_e32 v35, v28, v29
	;; [unrolled: 1-line block ×3, first 2 shown]
	v_sub_f16_e32 v6, v8, v9
	v_sub_f16_e32 v7, v10, v8
	;; [unrolled: 1-line block ×6, first 2 shown]
	v_add_f16_e32 v36, v3, v4
	v_sub_f16_e32 v37, v3, v4
	v_sub_f16_e32 v9, v9, v10
	;; [unrolled: 1-line block ×3, first 2 shown]
	v_add_f16_e32 v11, v11, v31
	v_add_f16_e32 v15, v15, v35
	v_sub_f16_e32 v3, v2, v3
	v_sub_f16_e32 v12, v12, v13
	v_sub_f16_e32 v13, v28, v29
	v_add_f16_e32 v5, v5, v10
	v_mul_f16_e32 v6, 0x3846, v6
	v_mul_f16_e32 v10, 0x2b26, v8
	;; [unrolled: 1-line block ×7, first 2 shown]
	v_add_f16_e32 v34, v11, v34
	v_add_f16_e32 v14, v15, v14
	v_mul_f16_e32 v29, 0x2b26, v32
	v_add_f16_e32 v2, v36, v2
	v_fmamk_f16 v36, v7, 0xb574, v6
	v_fmamk_f16 v8, v8, 0x2b26, v28
	;; [unrolled: 1-line block ×4, first 2 shown]
	v_fma_f16 v7, v7, 0x3574, -v33
	v_fma_f16 v28, v12, 0xb9e0, -v28
	;; [unrolled: 1-line block ×6, first 2 shown]
	v_fmamk_f16 v11, v11, 0xbcab, v34
	v_fmamk_f16 v12, v15, 0xbcab, v14
	v_fma_f16 v30, v13, 0xb9e0, -v30
	v_fma_f16 v9, v13, 0x39e0, -v29
	v_fmac_f16_e32 v36, 0xb70e, v5
	v_fmac_f16_e32 v37, 0xb70e, v2
	;; [unrolled: 1-line block ×6, first 2 shown]
	v_lshlrev_b32_e32 v2, 16, v34
	v_and_b32_e32 v5, 0xffff, v14
	v_add_f16_e32 v8, v8, v11
	v_add_f16_e32 v13, v32, v12
	;; [unrolled: 1-line block ×6, first 2 shown]
	v_or_b32_e32 v2, v2, v5
	v_add_f16_e32 v5, v36, v8
	v_sub_f16_e32 v29, v10, v6
	v_add_f16_e32 v6, v6, v10
	v_sub_f16_e32 v8, v8, v36
	v_add_f16_e32 v10, v37, v13
	v_add_f16_e32 v12, v7, v14
	v_sub_f16_e32 v28, v15, v3
	v_sub_f16_e32 v7, v14, v7
	v_add_f16_e32 v3, v3, v15
	v_sub_f16_e32 v11, v13, v37
	v_sub_f16_e32 v13, v9, v4
	v_add_f16_e32 v4, v4, v9
	global_store_b32 v[0:1], v2, off
	v_pack_b32_f16 v0, v10, v8
	v_pack_b32_f16 v1, v3, v7
	;; [unrolled: 1-line block ×6, first 2 shown]
	s_clause 0x5
	global_store_b32 v[16:17], v0, off
	global_store_b32 v[18:19], v1, off
	;; [unrolled: 1-line block ×6, first 2 shown]
.LBB0_26:
	s_nop 0
	s_sendmsg sendmsg(MSG_DEALLOC_VGPRS)
	s_endpgm
.LBB0_27:
	v_dual_mov_b32 v10, 0 :: v_dual_add_nc_u32 v9, 0xc4, v3
	s_delay_alu instid0(VALU_DEP_1) | instskip(NEXT) | instid1(VALU_DEP_1)
	v_mul_lo_u32 v9, s4, v9
	v_add3_u32 v9, s6, v1, v9
	s_delay_alu instid0(VALU_DEP_1) | instskip(NEXT) | instid1(VALU_DEP_1)
	v_lshlrev_b64_e32 v[9:10], 2, v[9:10]
	v_add_co_u32 v9, vcc_lo, s2, v9
	s_wait_alu 0xfffd
	s_delay_alu instid0(VALU_DEP_2)
	v_add_co_ci_u32_e32 v10, vcc_lo, s3, v10, vcc_lo
	global_load_b32 v9, v[9:10], off
	s_wait_alu 0xfffe
	s_or_b32 exec_lo, exec_lo, s7
	s_and_saveexec_b32 s7, s5
	s_cbranch_execz .LBB0_22
.LBB0_28:
	v_dual_mov_b32 v11, 0 :: v_dual_add_nc_u32 v8, 0xf5, v3
	s_delay_alu instid0(VALU_DEP_1) | instskip(NEXT) | instid1(VALU_DEP_1)
	v_mul_lo_u32 v8, s4, v8
	v_add3_u32 v10, s6, v1, v8
	s_delay_alu instid0(VALU_DEP_1) | instskip(NEXT) | instid1(VALU_DEP_1)
	v_lshlrev_b64_e32 v[10:11], 2, v[10:11]
	v_add_co_u32 v10, vcc_lo, s2, v10
	s_wait_alu 0xfffd
	s_delay_alu instid0(VALU_DEP_2)
	v_add_co_ci_u32_e32 v11, vcc_lo, s3, v11, vcc_lo
	global_load_b32 v8, v[10:11], off
	s_wait_alu 0xfffe
	s_or_b32 exec_lo, exec_lo, s7
	v_mov_b32_e32 v10, 0
	s_and_saveexec_b32 s7, s5
	s_cbranch_execnz .LBB0_23
	s_branch .LBB0_24
	.section	.rodata,"a",@progbits
	.p2align	6, 0x0
	.amdhsa_kernel fft_rtc_back_len343_factors_7_7_7_wgs_245_tpt_49_half_ip_CI_sbcc_dirReg_intrinsicReadWrite
		.amdhsa_group_segment_fixed_size 0
		.amdhsa_private_segment_fixed_size 0
		.amdhsa_kernarg_size 96
		.amdhsa_user_sgpr_count 2
		.amdhsa_user_sgpr_dispatch_ptr 0
		.amdhsa_user_sgpr_queue_ptr 0
		.amdhsa_user_sgpr_kernarg_segment_ptr 1
		.amdhsa_user_sgpr_dispatch_id 0
		.amdhsa_user_sgpr_private_segment_size 0
		.amdhsa_wavefront_size32 1
		.amdhsa_uses_dynamic_stack 0
		.amdhsa_enable_private_segment 0
		.amdhsa_system_sgpr_workgroup_id_x 1
		.amdhsa_system_sgpr_workgroup_id_y 0
		.amdhsa_system_sgpr_workgroup_id_z 0
		.amdhsa_system_sgpr_workgroup_info 0
		.amdhsa_system_vgpr_workitem_id 0
		.amdhsa_next_free_vgpr 46
		.amdhsa_next_free_sgpr 48
		.amdhsa_reserve_vcc 1
		.amdhsa_float_round_mode_32 0
		.amdhsa_float_round_mode_16_64 0
		.amdhsa_float_denorm_mode_32 3
		.amdhsa_float_denorm_mode_16_64 3
		.amdhsa_fp16_overflow 0
		.amdhsa_workgroup_processor_mode 1
		.amdhsa_memory_ordered 1
		.amdhsa_forward_progress 0
		.amdhsa_round_robin_scheduling 0
		.amdhsa_exception_fp_ieee_invalid_op 0
		.amdhsa_exception_fp_denorm_src 0
		.amdhsa_exception_fp_ieee_div_zero 0
		.amdhsa_exception_fp_ieee_overflow 0
		.amdhsa_exception_fp_ieee_underflow 0
		.amdhsa_exception_fp_ieee_inexact 0
		.amdhsa_exception_int_div_zero 0
	.end_amdhsa_kernel
	.text
.Lfunc_end0:
	.size	fft_rtc_back_len343_factors_7_7_7_wgs_245_tpt_49_half_ip_CI_sbcc_dirReg_intrinsicReadWrite, .Lfunc_end0-fft_rtc_back_len343_factors_7_7_7_wgs_245_tpt_49_half_ip_CI_sbcc_dirReg_intrinsicReadWrite
                                        ; -- End function
	.section	.AMDGPU.csdata,"",@progbits
; Kernel info:
; codeLenInByte = 5364
; NumSgprs: 50
; NumVgprs: 46
; ScratchSize: 0
; MemoryBound: 0
; FloatMode: 240
; IeeeMode: 1
; LDSByteSize: 0 bytes/workgroup (compile time only)
; SGPRBlocks: 6
; VGPRBlocks: 5
; NumSGPRsForWavesPerEU: 50
; NumVGPRsForWavesPerEU: 46
; Occupancy: 16
; WaveLimiterHint : 1
; COMPUTE_PGM_RSRC2:SCRATCH_EN: 0
; COMPUTE_PGM_RSRC2:USER_SGPR: 2
; COMPUTE_PGM_RSRC2:TRAP_HANDLER: 0
; COMPUTE_PGM_RSRC2:TGID_X_EN: 1
; COMPUTE_PGM_RSRC2:TGID_Y_EN: 0
; COMPUTE_PGM_RSRC2:TGID_Z_EN: 0
; COMPUTE_PGM_RSRC2:TIDIG_COMP_CNT: 0
	.text
	.p2alignl 7, 3214868480
	.fill 96, 4, 3214868480
	.type	__hip_cuid_2e6110164ad15c52,@object ; @__hip_cuid_2e6110164ad15c52
	.section	.bss,"aw",@nobits
	.globl	__hip_cuid_2e6110164ad15c52
__hip_cuid_2e6110164ad15c52:
	.byte	0                               ; 0x0
	.size	__hip_cuid_2e6110164ad15c52, 1

	.ident	"AMD clang version 19.0.0git (https://github.com/RadeonOpenCompute/llvm-project roc-6.4.0 25133 c7fe45cf4b819c5991fe208aaa96edf142730f1d)"
	.section	".note.GNU-stack","",@progbits
	.addrsig
	.addrsig_sym __hip_cuid_2e6110164ad15c52
	.amdgpu_metadata
---
amdhsa.kernels:
  - .args:
      - .actual_access:  read_only
        .address_space:  global
        .offset:         0
        .size:           8
        .value_kind:     global_buffer
      - .address_space:  global
        .offset:         8
        .size:           8
        .value_kind:     global_buffer
      - .offset:         16
        .size:           8
        .value_kind:     by_value
      - .actual_access:  read_only
        .address_space:  global
        .offset:         24
        .size:           8
        .value_kind:     global_buffer
      - .actual_access:  read_only
        .address_space:  global
        .offset:         32
        .size:           8
        .value_kind:     global_buffer
      - .offset:         40
        .size:           8
        .value_kind:     by_value
      - .actual_access:  read_only
        .address_space:  global
        .offset:         48
        .size:           8
        .value_kind:     global_buffer
      - .actual_access:  read_only
        .address_space:  global
        .offset:         56
        .size:           8
        .value_kind:     global_buffer
      - .offset:         64
        .size:           4
        .value_kind:     by_value
      - .actual_access:  read_only
        .address_space:  global
        .offset:         72
        .size:           8
        .value_kind:     global_buffer
      - .actual_access:  read_only
        .address_space:  global
        .offset:         80
        .size:           8
        .value_kind:     global_buffer
      - .address_space:  global
        .offset:         88
        .size:           8
        .value_kind:     global_buffer
    .group_segment_fixed_size: 0
    .kernarg_segment_align: 8
    .kernarg_segment_size: 96
    .language:       OpenCL C
    .language_version:
      - 2
      - 0
    .max_flat_workgroup_size: 245
    .name:           fft_rtc_back_len343_factors_7_7_7_wgs_245_tpt_49_half_ip_CI_sbcc_dirReg_intrinsicReadWrite
    .private_segment_fixed_size: 0
    .sgpr_count:     50
    .sgpr_spill_count: 0
    .symbol:         fft_rtc_back_len343_factors_7_7_7_wgs_245_tpt_49_half_ip_CI_sbcc_dirReg_intrinsicReadWrite.kd
    .uniform_work_group_size: 1
    .uses_dynamic_stack: false
    .vgpr_count:     46
    .vgpr_spill_count: 0
    .wavefront_size: 32
    .workgroup_processor_mode: 1
amdhsa.target:   amdgcn-amd-amdhsa--gfx1201
amdhsa.version:
  - 1
  - 2
...

	.end_amdgpu_metadata
